;; amdgpu-corpus repo=ROCm/rocFFT kind=compiled arch=gfx1201 opt=O3
	.text
	.amdgcn_target "amdgcn-amd-amdhsa--gfx1201"
	.amdhsa_code_object_version 6
	.protected	fft_rtc_fwd_len243_factors_3_3_3_3_3_wgs_216_tpt_27_half_op_CI_CI_sbrc_xy_z_diag_dirReg ; -- Begin function fft_rtc_fwd_len243_factors_3_3_3_3_3_wgs_216_tpt_27_half_op_CI_CI_sbrc_xy_z_diag_dirReg
	.globl	fft_rtc_fwd_len243_factors_3_3_3_3_3_wgs_216_tpt_27_half_op_CI_CI_sbrc_xy_z_diag_dirReg
	.p2align	8
	.type	fft_rtc_fwd_len243_factors_3_3_3_3_3_wgs_216_tpt_27_half_op_CI_CI_sbrc_xy_z_diag_dirReg,@function
fft_rtc_fwd_len243_factors_3_3_3_3_3_wgs_216_tpt_27_half_op_CI_CI_sbrc_xy_z_diag_dirReg: ; @fft_rtc_fwd_len243_factors_3_3_3_3_3_wgs_216_tpt_27_half_op_CI_CI_sbrc_xy_z_diag_dirReg
; %bb.0:
	s_load_b256 s[4:11], s[0:1], 0x0
	v_add_nc_u16 v5, v0, 0x288
	v_mul_u32_u24_e32 v1, 0x10e, v0
	v_add_nc_u16 v3, v0, 0xd8
	v_add_nc_u16 v4, v0, 0x1b0
	s_delay_alu instid0(VALU_DEP_4) | instskip(NEXT) | instid1(VALU_DEP_4)
	v_dual_mov_b32 v2, 0 :: v_dual_and_b32 v7, 0xffff, v5
	v_lshrrev_b32_e32 v27, 16, v1
	s_delay_alu instid0(VALU_DEP_4) | instskip(NEXT) | instid1(VALU_DEP_4)
	v_and_b32_e32 v1, 0xffff, v3
	v_and_b32_e32 v6, 0xffff, v4
	v_add_nc_u16 v19, v0, 0x360
	v_mul_u32_u24_e32 v7, 0x437, v7
	v_mul_lo_u16 v9, 0xf3, v27
	v_mul_u32_u24_e32 v1, 0x10e, v1
	v_mul_u32_u24_e32 v6, 0x437, v6
	v_and_b32_e32 v8, 0xffff, v19
	v_lshrrev_b32_e32 v30, 18, v7
	v_sub_nc_u16 v31, v0, v9
	s_clause 0x1
	s_load_b128 s[12:15], s[0:1], 0x58
	s_load_b64 s[22:23], s[0:1], 0x20
	s_wait_kmcnt 0x0
	s_load_b128 s[16:19], s[8:9], 0x8
	v_lshrrev_b32_e32 v28, 16, v1
	v_lshrrev_b32_e32 v29, 18, v6
	v_mul_lo_u16 v9, 0xf3, v30
	v_and_b32_e32 v13, 0xffff, v31
	v_mul_u32_u24_e32 v8, 0x437, v8
	v_mul_lo_u16 v1, 0xf3, v28
	v_mul_lo_u16 v6, 0xf3, v29
	v_sub_nc_u16 v35, v5, v9
	v_add_nc_u16 v20, v0, 0x438
	v_lshrrev_b32_e32 v32, 18, v8
	v_sub_nc_u16 v33, v3, v1
	v_sub_nc_u16 v34, v4, v6
	v_and_b32_e32 v17, 0xffff, v35
	s_mov_b32 s21, 0
	v_mul_lo_u16 v22, 0xf3, v32
	v_and_b32_e32 v15, 0xffff, v33
	v_and_b32_e32 v16, 0xffff, v34
	s_mov_b32 s9, s21
	s_wait_kmcnt 0x0
	s_load_b32 s17, s[10:11], 0x10
	s_add_co_i32 s0, s18, -1
	v_sub_nc_u16 v36, v19, v22
	s_lshr_b32 s8, s0, 3
	s_load_b128 s[0:3], s[10:11], 0x0
	s_wait_kmcnt 0x0
	s_add_co_i32 s3, s8, 1
	s_delay_alu instid0(SALU_CYCLE_1) | instskip(NEXT) | instid1(SALU_CYCLE_1)
	s_mul_i32 s3, s3, s16
	s_cvt_f32_u32 s8, s3
	s_sub_co_i32 s16, 0, s3
	s_delay_alu instid0(SALU_CYCLE_2) | instskip(SKIP_1) | instid1(TRANS32_DEP_1)
	v_rcp_iflag_f32_e32 v7, s8
	v_mul_lo_u32 v1, s17, v27
	v_readfirstlane_b32 s8, v7
	v_mad_co_u64_u32 v[3:4], null, s0, v13, 0
	v_mad_co_u64_u32 v[5:6], null, s0, v15, 0
	s_delay_alu instid0(VALU_DEP_3) | instskip(SKIP_4) | instid1(VALU_DEP_3)
	s_mul_f32 s8, s8, 0x4f7ffffe
	v_mad_co_u64_u32 v[7:8], null, s0, v16, 0
	v_mad_co_u64_u32 v[9:10], null, s0, v17, 0
	s_wait_alu 0xfffe
	s_cvt_u32_f32 s8, s8
	v_mad_co_u64_u32 v[13:14], null, s1, v13, v[4:5]
	v_lshlrev_b64_e32 v[11:12], 2, v[1:2]
	s_wait_alu 0xfffe
	s_mul_i32 s16, s16, s8
	v_mad_co_u64_u32 v[14:15], null, s1, v15, v[6:7]
	s_wait_alu 0xfffe
	s_mul_hi_u32 s16, s8, s16
	v_and_b32_e32 v21, 0xffff, v20
	s_wait_alu 0xfffe
	s_add_co_i32 s8, s8, s16
	v_mov_b32_e32 v4, v13
	s_wait_alu 0xfffe
	s_mul_hi_u32 s8, ttmp9, s8
	v_mad_co_u64_u32 v[15:16], null, s1, v16, v[8:9]
	v_mov_b32_e32 v6, v14
	s_wait_alu 0xfffe
	s_mul_i32 s16, s8, s3
	s_add_co_i32 s18, s8, 1
	s_wait_alu 0xfffe
	s_sub_co_i32 s16, ttmp9, s16
	v_lshlrev_b64_e32 v[3:4], 2, v[3:4]
	s_wait_alu 0xfffe
	s_sub_co_i32 s19, s16, s3
	s_cmp_ge_u32 s16, s3
	v_mul_lo_u32 v1, s17, v28
	s_cselect_b32 s8, s18, s8
	s_cselect_b32 s16, s19, s16
	s_wait_alu 0xfffe
	s_add_co_i32 s18, s8, 1
	s_cmp_ge_u32 s16, s3
	v_lshlrev_b64_e32 v[5:6], 2, v[5:6]
	s_cselect_b32 s8, s18, s8
	s_lshl_b64 s[6:7], s[6:7], 3
	s_wait_alu 0xfffe
	s_mul_i32 s3, s8, s3
	s_add_nc_u64 s[10:11], s[10:11], s[6:7]
	s_sub_co_i32 s3, ttmp9, s3
	s_load_b64 s[18:19], s[10:11], 0x0
	s_mul_hi_u32 s16, s3, 0x2f684bdb
	v_mov_b32_e32 v8, v15
	s_wait_alu 0xfffe
	s_sub_co_i32 s20, s3, s16
	v_mad_co_u64_u32 v[16:17], null, s1, v17, v[10:11]
	s_lshr_b32 s10, s20, 1
	v_lshlrev_b64_e32 v[17:18], 2, v[1:2]
	s_add_co_i32 s10, s10, s16
	v_mul_lo_u32 v1, s17, v29
	s_lshr_b32 s10, s10, 4
	v_lshlrev_b64_e32 v[7:8], 2, v[7:8]
	s_mul_i32 s11, s10, 27
	v_and_b32_e32 v14, 0xffff, v36
	s_sub_co_i32 s3, s3, s11
	v_mov_b32_e32 v10, v16
	s_add_co_i32 s10, s10, s3
	s_add_nc_u64 s[6:7], s[22:23], s[6:7]
	s_mul_hi_u32 s11, s10, 0x86d90545
	s_delay_alu instid0(SALU_CYCLE_1)
	s_lshr_b32 s16, s11, 7
	s_lshl_b32 s11, s3, 3
	s_wait_alu 0xfffe
	s_mulk_i32 s16, 0xf3
	s_mul_i32 s20, s11, s17
	s_wait_alu 0xfffe
	s_sub_co_i32 s10, s10, s16
	s_wait_kmcnt 0x0
	s_mul_u64 s[18:19], s[18:19], s[8:9]
	s_mul_i32 s16, s10, s2
	s_lshl_b64 s[2:3], s[18:19], 2
	s_wait_alu 0xfffe
	s_add_co_i32 s20, s16, s20
	s_add_nc_u64 s[2:3], s[12:13], s[2:3]
	s_lshl_b64 s[12:13], s[20:21], 2
	v_lshlrev_b64_e32 v[9:10], 2, v[9:10]
	s_add_nc_u64 s[2:3], s[2:3], s[12:13]
	s_delay_alu instid0(SALU_CYCLE_1)
	v_add_co_u32 v3, vcc_lo, s2, v3
	v_add_co_ci_u32_e32 v4, vcc_lo, s3, v4, vcc_lo
	v_add_co_u32 v5, vcc_lo, s2, v5
	s_wait_alu 0xfffd
	v_add_co_ci_u32_e32 v6, vcc_lo, s3, v6, vcc_lo
	v_add_co_u32 v3, vcc_lo, v3, v11
	s_wait_alu 0xfffd
	;; [unrolled: 3-line block ×3, first 2 shown]
	v_add_co_ci_u32_e32 v6, vcc_lo, v6, v18, vcc_lo
	v_lshlrev_b64_e32 v[11:12], 2, v[1:2]
	v_mul_u32_u24_e32 v1, 0x437, v21
	v_add_co_u32 v7, vcc_lo, s2, v7
	s_wait_alu 0xfffd
	v_add_co_ci_u32_e32 v8, vcc_lo, s3, v8, vcc_lo
	s_delay_alu instid0(VALU_DEP_3) | instskip(NEXT) | instid1(VALU_DEP_3)
	v_lshrrev_b32_e32 v37, 18, v1
	v_add_co_u32 v7, vcc_lo, v7, v11
	s_wait_alu 0xfffd
	s_delay_alu instid0(VALU_DEP_3)
	v_add_co_ci_u32_e32 v8, vcc_lo, v8, v12, vcc_lo
	v_mad_co_u64_u32 v[11:12], null, s0, v14, 0
	v_mul_lo_u16 v13, 0xf3, v37
	v_mul_lo_u32 v1, s17, v30
	v_add_co_u32 v16, vcc_lo, s2, v9
	v_add_nc_u16 v18, v0, 0x510
	s_delay_alu instid0(VALU_DEP_4)
	v_sub_nc_u16 v38, v20, v13
	v_mov_b32_e32 v9, v12
	s_wait_alu 0xfffd
	v_add_co_ci_u32_e32 v17, vcc_lo, s3, v10, vcc_lo
	v_lshlrev_b64_e32 v[12:13], 2, v[1:2]
	v_and_b32_e32 v19, 0xffff, v38
	v_mad_co_u64_u32 v[9:10], null, s1, v14, v[9:10]
	v_and_b32_e32 v1, 0xffff, v18
	v_add_nc_u16 v20, v0, 0x5e8
	s_delay_alu instid0(VALU_DEP_4) | instskip(SKIP_1) | instid1(VALU_DEP_4)
	v_mad_co_u64_u32 v[14:15], null, s0, v19, 0
	v_add_co_u32 v16, vcc_lo, v16, v12
	v_mul_u32_u24_e32 v10, 0x437, v1
	v_mov_b32_e32 v12, v9
	s_wait_alu 0xfffd
	v_add_co_ci_u32_e32 v17, vcc_lo, v17, v13, vcc_lo
	v_and_b32_e32 v13, 0xffff, v20
	v_add_nc_u16 v21, v0, 0x6c0
	v_lshrrev_b32_e32 v39, 18, v10
	v_lshlrev_b64_e32 v[9:10], 2, v[11:12]
	v_mov_b32_e32 v11, v15
	v_mul_u32_u24_e32 v13, 0x437, v13
	v_and_b32_e32 v22, 0xffff, v21
	v_mul_lo_u32 v1, s17, v32
	v_mul_lo_u16 v15, 0xf3, v39
	v_mad_co_u64_u32 v[11:12], null, s1, v19, v[11:12]
	v_lshrrev_b32_e32 v41, 18, v13
	v_mul_u32_u24_e32 v12, 0x437, v22
	v_add_co_u32 v13, vcc_lo, s2, v9
	v_sub_nc_u16 v40, v18, v15
	s_wait_alu 0xfffd
	v_add_co_ci_u32_e32 v18, vcc_lo, s3, v10, vcc_lo
	v_lshlrev_b64_e32 v[9:10], 2, v[1:2]
	v_mul_lo_u16 v1, 0xf3, v41
	v_lshrrev_b32_e32 v42, 18, v12
	v_dual_mov_b32 v15, v11 :: v_dual_and_b32 v22, 0xffff, v40
	s_delay_alu instid0(VALU_DEP_3) | instskip(NEXT) | instid1(VALU_DEP_3)
	v_sub_nc_u16 v43, v20, v1
	v_mul_lo_u16 v1, 0xf3, v42
	s_delay_alu instid0(VALU_DEP_3) | instskip(SKIP_1) | instid1(VALU_DEP_3)
	v_mad_co_u64_u32 v[11:12], null, s0, v22, 0
	v_add_co_u32 v9, vcc_lo, v13, v9
	v_sub_nc_u16 v44, v21, v1
	v_and_b32_e32 v23, 0xffff, v43
	v_lshlrev_b64_e32 v[13:14], 2, v[14:15]
	v_mul_lo_u32 v1, s17, v37
	s_wait_alu 0xfffd
	v_add_co_ci_u32_e32 v10, vcc_lo, v18, v10, vcc_lo
	v_and_b32_e32 v25, 0xffff, v44
	v_mad_co_u64_u32 v[18:19], null, s0, v23, 0
	v_mad_co_u64_u32 v[20:21], null, s1, v22, v[12:13]
	s_delay_alu instid0(VALU_DEP_3)
	v_mad_co_u64_u32 v[21:22], null, s0, v25, 0
	v_add_co_u32 v24, vcc_lo, s2, v13
	s_wait_alu 0xfffd
	v_add_co_ci_u32_e32 v26, vcc_lo, s3, v14, vcc_lo
	v_lshlrev_b64_e32 v[14:15], 2, v[1:2]
	v_dual_mov_b32 v13, v19 :: v_dual_mov_b32 v12, v20
	v_mul_lo_u32 v1, s17, v39
	s_delay_alu instid0(VALU_DEP_2)
	v_mad_co_u64_u32 v[19:20], null, s1, v23, v[13:14]
	v_mov_b32_e32 v13, v22
	v_add_co_u32 v14, vcc_lo, v24, v14
	v_lshlrev_b64_e32 v[11:12], 2, v[11:12]
	s_wait_alu 0xfffd
	v_add_co_ci_u32_e32 v15, vcc_lo, v26, v15, vcc_lo
	s_delay_alu instid0(VALU_DEP_3)
	v_mad_co_u64_u32 v[25:26], null, s1, v25, v[13:14]
	v_lshlrev_b64_e32 v[23:24], 2, v[1:2]
	v_mul_lo_u32 v1, s17, v41
	v_add_co_u32 v13, vcc_lo, s2, v11
	s_wait_alu 0xfffd
	v_add_co_ci_u32_e32 v20, vcc_lo, s3, v12, vcc_lo
	v_mov_b32_e32 v22, v25
	v_lshlrev_b64_e32 v[11:12], 2, v[18:19]
	v_add_co_u32 v18, vcc_lo, v13, v23
	s_wait_alu 0xfffd
	v_add_co_ci_u32_e32 v19, vcc_lo, v20, v24, vcc_lo
	v_lshlrev_b64_e32 v[23:24], 2, v[1:2]
	v_mul_lo_u32 v1, s17, v42
	v_lshlrev_b64_e32 v[20:21], 2, v[21:22]
	v_add_co_u32 v13, vcc_lo, s2, v11
	s_wait_alu 0xfffd
	v_add_co_ci_u32_e32 v22, vcc_lo, s3, v12, vcc_lo
	s_delay_alu instid0(VALU_DEP_3)
	v_add_co_u32 v25, vcc_lo, s2, v20
	v_lshlrev_b64_e32 v[11:12], 2, v[1:2]
	s_wait_alu 0xfffd
	v_add_co_ci_u32_e32 v26, vcc_lo, s3, v21, vcc_lo
	v_add_co_u32 v20, vcc_lo, v13, v23
	s_wait_alu 0xfffd
	v_add_co_ci_u32_e32 v21, vcc_lo, v22, v24, vcc_lo
	v_add_co_u32 v11, vcc_lo, v25, v11
	s_wait_alu 0xfffd
	v_add_co_ci_u32_e32 v12, vcc_lo, v26, v12, vcc_lo
	s_clause 0x8
	global_load_b32 v13, v[3:4], off
	global_load_b32 v22, v[5:6], off
	;; [unrolled: 1-line block ×9, first 2 shown]
	v_lshrrev_b32_e32 v1, 3, v0
	v_lshlrev_b16 v21, 3, v31
	v_and_b32_e32 v5, 7, v0
	v_lshlrev_b16 v31, 3, v34
	v_lshlrev_b16 v34, 3, v36
	v_add_nc_u32_e32 v6, 27, v1
	v_mul_lo_u16 v12, 0x56, v1
	v_add_nc_u32_e32 v4, 54, v1
	v_lshlrev_b16 v36, 3, v40
	v_lshlrev_b16 v40, 3, v44
	v_lshlrev_b32_e32 v3, 5, v1
	v_lshrrev_b16 v19, 8, v12
	v_mul_lo_u16 v12, 0x56, v6
	v_lshlrev_b32_e32 v7, 2, v5
	v_mul_lo_u16 v17, 0x56, v4
	s_clause 0x1
	s_load_b128 s[0:3], s[22:23], 0x0
	s_load_b64 s[6:7], s[6:7], 0x0
	v_lshrrev_b16 v25, 8, v12
	v_or_b32_e32 v12, v21, v27
	v_lshlrev_b16 v27, 3, v33
	v_lshlrev_b16 v33, 3, v35
	;; [unrolled: 1-line block ×4, first 2 shown]
	v_and_b32_e32 v12, 0xffff, v12
	v_or_b32_e32 v27, v27, v28
	v_or_b32_e32 v28, v31, v29
	v_or_b32_e32 v29, v33, v30
	v_add_nc_u16 v30, v34, v32
	v_or_b32_e32 v31, v35, v37
	v_add_nc_u16 v32, v36, v39
	v_add_nc_u16 v33, v38, v41
	;; [unrolled: 1-line block ×3, first 2 shown]
	v_add3_u32 v3, 0, v3, v7
	v_and_b32_e32 v27, 0xffff, v27
	v_lshrrev_b16 v26, 8, v17
	v_and_b32_e32 v28, 0xffff, v28
	v_and_b32_e32 v29, 0xffff, v29
	;; [unrolled: 1-line block ×3, first 2 shown]
	v_lshl_add_u32 v12, v12, 2, 0
	v_and_b32_e32 v31, 0xffff, v31
	v_and_b32_e32 v32, 0xffff, v32
	;; [unrolled: 1-line block ×4, first 2 shown]
	v_add_nc_u32_e32 v18, 0x680, v3
	v_add_nc_u32_e32 v23, 0xd00, v3
	v_lshl_add_u32 v27, v27, 2, 0
	v_add_nc_u32_e32 v20, 0x1400, v3
	v_mul_lo_u16 v21, v26, 3
	v_lshl_add_u32 v28, v28, 2, 0
	v_lshl_add_u32 v29, v29, 2, 0
	;; [unrolled: 1-line block ×3, first 2 shown]
	s_wait_kmcnt 0x0
	s_load_b32 s3, s[22:23], 0x10
	v_lshl_add_u32 v31, v31, 2, 0
	v_lshl_add_u32 v32, v32, 2, 0
	;; [unrolled: 1-line block ×4, first 2 shown]
	v_mul_lo_u16 v24, v19, 3
	v_mul_lo_u16 v17, v25, 3
	v_and_b32_e32 v19, 0xffff, v19
	v_cmp_gt_u32_e32 vcc_lo, 0x288, v0
	v_or_b32_e32 v5, s11, v5
	s_mul_i32 s11, s2, 0x51
	v_sub_nc_u16 v17, v6, v17
	v_mul_u32_u24_e32 v19, 9, v19
	s_wait_loadcnt 0x8
	ds_store_b32 v12, v13
	s_wait_loadcnt 0x7
	ds_store_b32 v27, v22
	;; [unrolled: 2-line block ×9, first 2 shown]
	global_wb scope:SCOPE_SE
	s_wait_dscnt 0x0
	s_wait_kmcnt 0x0
	s_barrier_signal -1
	s_barrier_wait -1
	global_inv scope:SCOPE_SE
	ds_load_2addr_b32 v[8:9], v3 offset1:216
	ds_load_2addr_b32 v[10:11], v18 offset0:16 offset1:232
	ds_load_2addr_b32 v[12:13], v20 offset0:16 offset1:232
	;; [unrolled: 1-line block ×3, first 2 shown]
	v_sub_nc_u16 v18, v4, v21
	ds_load_b32 v21, v3 offset:6912
	v_sub_nc_u16 v16, v1, v24
	v_lshl_add_u32 v20, v1, 6, v3
	v_and_b32_e32 v27, 0xff, v17
	v_and_b32_e32 v28, 0xff, v18
	global_wb scope:SCOPE_SE
	s_wait_dscnt 0x0
	v_and_b32_e32 v22, 0xff, v16
	v_add_nc_u32_e32 v16, 0x800, v20
	v_lshlrev_b32_e32 v23, 3, v27
	v_add_nc_u32_e32 v17, 0x1400, v20
	v_lshlrev_b32_e32 v24, 3, v28
	v_lshlrev_b32_e32 v18, 3, v22
	s_barrier_signal -1
	s_barrier_wait -1
	global_inv scope:SCOPE_SE
	v_add_lshl_u32 v35, v19, v22, 5
	v_pk_add_f16 v29, v8, v11
	v_pk_add_f16 v30, v11, v12
	v_pk_add_f16 v11, v11, v12 neg_lo:[0,1] neg_hi:[0,1]
	v_pk_add_f16 v31, v9, v14
	v_pk_add_f16 v32, v14, v13
	v_pk_add_f16 v14, v14, v13 neg_lo:[0,1] neg_hi:[0,1]
	v_pk_add_f16 v33, v10, v15
	v_pk_add_f16 v34, v15, v21
	v_pk_add_f16 v15, v15, v21 neg_lo:[0,1] neg_hi:[0,1]
	v_pk_fma_f16 v8, v30, 0.5, v8 op_sel_hi:[1,0,1] neg_lo:[1,0,0] neg_hi:[1,0,0]
	v_pk_mul_f16 v11, 0x3aee, v11 op_sel_hi:[0,1]
	v_pk_fma_f16 v9, v32, 0.5, v9 op_sel_hi:[1,0,1] neg_lo:[1,0,0] neg_hi:[1,0,0]
	v_pk_mul_f16 v14, 0x3aee, v14 op_sel_hi:[0,1]
	;; [unrolled: 2-line block ×3, first 2 shown]
	v_pk_add_f16 v12, v29, v12
	v_pk_add_f16 v29, v8, v11 op_sel:[0,1] op_sel_hi:[1,0]
	v_pk_add_f16 v8, v8, v11 op_sel:[0,1] op_sel_hi:[1,0] neg_lo:[0,1] neg_hi:[0,1]
	v_pk_add_f16 v11, v9, v14 op_sel:[0,1] op_sel_hi:[1,0]
	v_pk_add_f16 v9, v9, v14 op_sel:[0,1] op_sel_hi:[1,0] neg_lo:[0,1] neg_hi:[0,1]
	v_pk_add_f16 v14, v10, v15 op_sel:[0,1] op_sel_hi:[1,0]
	v_pk_add_f16 v10, v10, v15 op_sel:[0,1] op_sel_hi:[1,0] neg_lo:[0,1] neg_hi:[0,1]
	v_pk_add_f16 v15, v33, v21
	v_bfi_b32 v21, 0xffff, v29, v8
	v_pk_add_f16 v13, v31, v13
	v_bfi_b32 v8, 0xffff, v8, v29
	v_bfi_b32 v29, 0xffff, v11, v9
	;; [unrolled: 1-line block ×5, first 2 shown]
	ds_store_2addr_b32 v20, v12, v21 offset1:8
	ds_store_2addr_b32 v16, v13, v29 offset0:136 offset1:144
	ds_store_2addr_b32 v17, v15, v30 offset0:16 offset1:24
	ds_store_b32 v20, v8 offset:64
	ds_store_b32 v20, v9 offset:2656
	;; [unrolled: 1-line block ×3, first 2 shown]
	global_wb scope:SCOPE_SE
	s_wait_dscnt 0x0
	s_barrier_signal -1
	s_barrier_wait -1
	global_inv scope:SCOPE_SE
	s_clause 0x2
	global_load_b64 v[13:14], v18, s[4:5]
	global_load_b64 v[15:16], v23, s[4:5]
	global_load_b64 v[17:18], v24, s[4:5]
	v_mul_lo_u16 v8, v1, 29
	v_mul_lo_u16 v12, v6, 57
	;; [unrolled: 1-line block ×3, first 2 shown]
	v_lshlrev_b32_e32 v11, 6, v6
	v_lshlrev_b32_e32 v21, 6, v4
	v_lshrrev_b16 v29, 8, v8
	v_lshrrev_b16 v30, 9, v12
	v_add_nc_u32_e32 v12, 0xa20, v20
	v_lshrrev_b16 v31, 9, v23
	v_add_nc_u32_e32 v20, 0x1440, v20
	v_mul_lo_u16 v24, v29, 9
	v_and_b32_e32 v23, 0xffff, v25
	v_sub_nc_u32_e32 v12, v12, v11
	v_add_nc_u32_e32 v10, 0x1780, v3
	v_add_nc_u32_e32 v8, 0xa00, v3
	v_sub_nc_u16 v24, v1, v24
	v_add_nc_u32_e32 v9, 0x1080, v3
	v_sub_nc_u32_e32 v11, v20, v21
	v_mul_u32_u24_e32 v33, 9, v23
	v_and_b32_e32 v25, 0xffff, v26
	v_and_b32_e32 v34, 0xff, v24
	ds_load_b32 v37, v3
	ds_load_b32 v38, v12
	ds_load_2addr_b32 v[19:20], v10 offset0:8 offset1:224
	ds_load_2addr_b32 v[21:22], v8 offset0:8 offset1:224
	;; [unrolled: 1-line block ×3, first 2 shown]
	ds_load_u16 v39, v11
	ds_load_u16 v40, v11 offset:2
	v_mul_lo_u16 v26, v30, 9
	v_mul_lo_u16 v32, v31, 9
	v_mul_u32_u24_e32 v25, 9, v25
	v_add_lshl_u32 v27, v33, v27, 5
	v_lshlrev_b32_e32 v36, 3, v34
	v_sub_nc_u16 v26, v6, v26
	v_sub_nc_u16 v32, v4, v32
	v_add_lshl_u32 v25, v25, v28, 5
	v_add3_u32 v28, 0, v35, v7
	v_add3_u32 v27, 0, v27, v7
	v_and_b32_e32 v26, 0xff, v26
	v_and_b32_e32 v32, 0xff, v32
	v_add3_u32 v25, 0, v25, v7
	global_wb scope:SCOPE_SE
	s_wait_loadcnt_dscnt 0x0
	v_lshrrev_b32_e32 v41, 16, v37
	v_lshrrev_b32_e32 v42, 16, v38
	;; [unrolled: 1-line block ×8, first 2 shown]
	v_lshlrev_b32_e32 v33, 3, v26
	v_lshlrev_b32_e32 v35, 3, v32
	s_barrier_signal -1
	s_barrier_wait -1
	global_inv scope:SCOPE_SE
	s_mul_i32 s20, s10, s3
	v_lshrrev_b32_e32 v49, 16, v13
	v_lshrrev_b32_e32 v50, 16, v14
	;; [unrolled: 1-line block ×6, first 2 shown]
	v_mul_f16_e32 v55, v49, v44
	v_mul_f16_e32 v49, v49, v21
	;; [unrolled: 1-line block ×12, first 2 shown]
	v_fma_f16 v21, v13, v21, -v55
	v_fmac_f16_e32 v49, v13, v44
	v_fma_f16 v13, v14, v24, -v56
	v_fmac_f16_e32 v50, v14, v45
	;; [unrolled: 2-line block ×6, first 2 shown]
	v_add_f16_e32 v19, v21, v13
	v_add_f16_e32 v23, v49, v50
	;; [unrolled: 1-line block ×4, first 2 shown]
	v_sub_f16_e32 v20, v49, v50
	v_add_f16_e32 v22, v41, v49
	v_sub_f16_e32 v44, v51, v52
	v_add_f16_e32 v45, v42, v51
	v_add_f16_e32 v48, v16, v17
	v_sub_f16_e32 v49, v53, v54
	v_add_f16_e32 v51, v40, v53
	v_add_f16_e32 v53, v53, v54
	;; [unrolled: 1-line block ×3, first 2 shown]
	v_sub_f16_e32 v21, v21, v13
	v_add_f16_e32 v47, v39, v16
	v_fmac_f16_e32 v37, -0.5, v19
	v_fmac_f16_e32 v41, -0.5, v23
	v_add_f16_e32 v24, v38, v14
	v_sub_f16_e32 v14, v14, v15
	v_fmac_f16_e32 v38, -0.5, v43
	v_fmac_f16_e32 v42, -0.5, v46
	v_sub_f16_e32 v16, v16, v17
	v_fmac_f16_e32 v39, -0.5, v48
	v_fmac_f16_e32 v40, -0.5, v53
	v_add_f16_e32 v13, v18, v13
	v_add_f16_e32 v18, v22, v50
	;; [unrolled: 1-line block ×4, first 2 shown]
	v_fmamk_f16 v23, v20, 0x3aee, v37
	v_fmac_f16_e32 v37, 0xbaee, v20
	v_fmamk_f16 v20, v21, 0xbaee, v41
	v_fmac_f16_e32 v41, 0x3aee, v21
	v_add_f16_e32 v15, v24, v15
	v_add_f16_e32 v19, v45, v52
	v_fmamk_f16 v21, v44, 0x3aee, v38
	v_fmamk_f16 v24, v14, 0xbaee, v42
	v_fmac_f16_e32 v38, 0xbaee, v44
	v_fmac_f16_e32 v42, 0x3aee, v14
	v_fmamk_f16 v14, v49, 0x3aee, v39
	v_fmamk_f16 v43, v16, 0xbaee, v40
	v_fmac_f16_e32 v39, 0xbaee, v49
	v_fmac_f16_e32 v40, 0x3aee, v16
	v_pack_b32_f16 v13, v13, v18
	v_pack_b32_f16 v16, v17, v22
	;; [unrolled: 1-line block ×9, first 2 shown]
	ds_store_2addr_b32 v28, v13, v17 offset1:24
	ds_store_b32 v28, v18 offset:192
	ds_store_2addr_b32 v27, v15, v19 offset1:24
	ds_store_b32 v27, v20 offset:192
	;; [unrolled: 2-line block ×3, first 2 shown]
	global_wb scope:SCOPE_SE
	s_wait_dscnt 0x0
	s_barrier_signal -1
	s_barrier_wait -1
	global_inv scope:SCOPE_SE
	s_clause 0x2
	global_load_b64 v[13:14], v36, s[4:5] offset:24
	global_load_b64 v[15:16], v33, s[4:5] offset:24
	;; [unrolled: 1-line block ×3, first 2 shown]
	v_mul_lo_u16 v19, v1, 19
	v_mul_lo_u16 v20, v4, 19
	v_and_b32_e32 v21, 0xffff, v29
	s_delay_alu instid0(VALU_DEP_3) | instskip(SKIP_1) | instid1(VALU_DEP_4)
	v_lshrrev_b16 v25, 9, v19
	v_mul_lo_u16 v19, v6, 19
	v_lshrrev_b16 v28, 9, v20
	v_and_b32_e32 v20, 0xffff, v30
	s_delay_alu instid0(VALU_DEP_4) | instskip(NEXT) | instid1(VALU_DEP_4)
	v_mul_lo_u16 v22, v25, 27
	v_lshrrev_b16 v27, 9, v19
	v_mul_u32_u24_e32 v19, 27, v21
	v_mul_lo_u16 v24, v28, 27
	v_mul_u32_u24_e32 v29, 27, v20
	v_sub_nc_u16 v21, v1, v22
	v_and_b32_e32 v22, 0xffff, v31
	v_mul_lo_u16 v23, v27, 27
	v_sub_nc_u16 v35, v4, v24
	v_add_lshl_u32 v34, v19, v34, 5
	v_and_b32_e32 v30, 0xff, v21
	v_mul_u32_u24_e32 v31, 27, v22
	v_sub_nc_u16 v33, v6, v23
	ds_load_b32 v37, v3
	ds_load_b32 v38, v12
	ds_load_2addr_b32 v[19:20], v10 offset0:8 offset1:224
	ds_load_2addr_b32 v[21:22], v8 offset0:8 offset1:224
	;; [unrolled: 1-line block ×3, first 2 shown]
	ds_load_u16 v39, v11
	ds_load_u16 v40, v11 offset:2
	v_and_b32_e32 v35, 0xff, v35
	v_add_lshl_u32 v26, v29, v26, 5
	v_and_b32_e32 v33, 0xff, v33
	v_add_lshl_u32 v29, v31, v32, 5
	v_lshlrev_b32_e32 v36, 3, v30
	v_add3_u32 v31, 0, v34, v7
	v_lshlrev_b32_e32 v34, 3, v35
	v_lshlrev_b32_e32 v32, 3, v33
	v_add3_u32 v26, 0, v26, v7
	v_add3_u32 v29, 0, v29, v7
	global_wb scope:SCOPE_SE
	s_wait_loadcnt_dscnt 0x0
	s_barrier_signal -1
	s_barrier_wait -1
	global_inv scope:SCOPE_SE
	v_lshrrev_b32_e32 v41, 16, v37
	v_lshrrev_b32_e32 v42, 16, v38
	;; [unrolled: 1-line block ×14, first 2 shown]
	v_mul_f16_e32 v55, v49, v44
	v_mul_f16_e32 v49, v49, v21
	;; [unrolled: 1-line block ×12, first 2 shown]
	v_fma_f16 v21, v13, v21, -v55
	v_fmac_f16_e32 v49, v13, v44
	v_fma_f16 v13, v14, v24, -v56
	v_fmac_f16_e32 v50, v14, v45
	;; [unrolled: 2-line block ×6, first 2 shown]
	v_add_f16_e32 v19, v21, v13
	v_add_f16_e32 v23, v49, v50
	;; [unrolled: 1-line block ×4, first 2 shown]
	v_sub_f16_e32 v20, v49, v50
	v_add_f16_e32 v22, v41, v49
	v_sub_f16_e32 v44, v51, v52
	v_add_f16_e32 v45, v42, v51
	v_add_f16_e32 v48, v16, v17
	v_sub_f16_e32 v49, v53, v54
	v_add_f16_e32 v51, v40, v53
	v_add_f16_e32 v53, v53, v54
	;; [unrolled: 1-line block ×3, first 2 shown]
	v_sub_f16_e32 v21, v21, v13
	v_add_f16_e32 v47, v39, v16
	v_fmac_f16_e32 v37, -0.5, v19
	v_fmac_f16_e32 v41, -0.5, v23
	v_add_f16_e32 v24, v38, v14
	v_sub_f16_e32 v14, v14, v15
	v_fmac_f16_e32 v38, -0.5, v43
	v_fmac_f16_e32 v42, -0.5, v46
	v_sub_f16_e32 v16, v16, v17
	v_fmac_f16_e32 v39, -0.5, v48
	v_fmac_f16_e32 v40, -0.5, v53
	v_add_f16_e32 v13, v18, v13
	v_add_f16_e32 v18, v22, v50
	;; [unrolled: 1-line block ×4, first 2 shown]
	v_fmamk_f16 v23, v20, 0x3aee, v37
	v_fmac_f16_e32 v37, 0xbaee, v20
	v_fmamk_f16 v20, v21, 0xbaee, v41
	v_fmac_f16_e32 v41, 0x3aee, v21
	v_add_f16_e32 v15, v24, v15
	v_add_f16_e32 v19, v45, v52
	v_fmamk_f16 v21, v44, 0x3aee, v38
	v_fmamk_f16 v24, v14, 0xbaee, v42
	v_fmac_f16_e32 v38, 0xbaee, v44
	v_fmac_f16_e32 v42, 0x3aee, v14
	v_fmamk_f16 v14, v49, 0x3aee, v39
	v_fmamk_f16 v43, v16, 0xbaee, v40
	v_fmac_f16_e32 v39, 0xbaee, v49
	v_fmac_f16_e32 v40, 0x3aee, v16
	v_pack_b32_f16 v13, v13, v18
	v_pack_b32_f16 v16, v17, v22
	;; [unrolled: 1-line block ×9, first 2 shown]
	ds_store_2addr_b32 v31, v13, v17 offset1:72
	ds_store_b32 v31, v18 offset:576
	ds_store_2addr_b32 v26, v15, v19 offset1:72
	ds_store_b32 v26, v20 offset:576
	;; [unrolled: 2-line block ×3, first 2 shown]
	global_wb scope:SCOPE_SE
	s_wait_dscnt 0x0
	s_barrier_signal -1
	s_barrier_wait -1
	global_inv scope:SCOPE_SE
	s_clause 0x2
	global_load_b64 v[13:14], v36, s[4:5] offset:96
	global_load_b64 v[15:16], v32, s[4:5] offset:96
	;; [unrolled: 1-line block ×3, first 2 shown]
	v_mul_lo_u16 v19, v4, 51
	v_and_b32_e32 v22, 0xffff, v25
	v_and_b32_e32 v23, 0xffff, v27
	;; [unrolled: 1-line block ×3, first 2 shown]
	v_subrev_nc_u32_e32 v21, 54, v1
	v_lshrrev_b16 v29, 12, v19
	v_add_nc_u32_e32 v19, 0xffffffaf, v1
	s_delay_alu instid0(VALU_DEP_2) | instskip(SKIP_1) | instid1(VALU_DEP_2)
	v_mul_lo_u16 v20, 0x51, v29
	s_wait_alu 0xfffd
	v_cndmask_b32_e32 v31, v19, v1, vcc_lo
	v_mul_u32_u24_e32 v1, 0x51, v22
	v_mul_u32_u24_e32 v19, 0x51, v23
	;; [unrolled: 1-line block ×3, first 2 shown]
	v_sub_nc_u16 v20, v4, v20
	v_cmp_gt_u32_e32 vcc_lo, 0x1b0, v0
	v_add_lshl_u32 v23, v1, v30, 5
	v_add_lshl_u32 v19, v19, v33, 5
	;; [unrolled: 1-line block ×3, first 2 shown]
	v_lshlrev_b16 v20, 1, v20
	s_wait_alu 0xfffd
	v_cndmask_b32_e32 v21, v21, v6, vcc_lo
	v_lshlrev_b32_e32 v1, 1, v31
	v_add3_u32 v30, 0, v23, v7
	v_add3_u32 v32, 0, v19, v7
	v_and_b32_e32 v20, 0xfe, v20
	v_add3_u32 v7, 0, v22, v7
	s_delay_alu instid0(VALU_DEP_2)
	v_lshlrev_b32_e32 v33, 2, v20
	v_lshlrev_b64_e32 v[19:20], 2, v[1:2]
	v_lshlrev_b32_e32 v1, 1, v21
	ds_load_b32 v34, v3
	ds_load_b32 v35, v12
	ds_load_2addr_b32 v[21:22], v10 offset0:8 offset1:224
	ds_load_2addr_b32 v[23:24], v8 offset0:8 offset1:224
	;; [unrolled: 1-line block ×3, first 2 shown]
	v_lshlrev_b64_e32 v[27:28], 2, v[1:2]
	ds_load_u16 v1, v11
	ds_load_u16 v36, v11 offset:2
	v_add_co_u32 v19, vcc_lo, s4, v19
	s_wait_alu 0xfffd
	v_add_co_ci_u32_e32 v20, vcc_lo, s5, v20, vcc_lo
	v_add_co_u32 v27, vcc_lo, s4, v27
	s_wait_alu 0xfffd
	v_add_co_ci_u32_e32 v28, vcc_lo, s5, v28, vcc_lo
	global_wb scope:SCOPE_SE
	s_wait_loadcnt_dscnt 0x0
	s_barrier_signal -1
	v_lshrrev_b32_e32 v37, 16, v34
	v_lshrrev_b32_e32 v38, 16, v35
	;; [unrolled: 1-line block ×8, first 2 shown]
	s_barrier_wait -1
	global_inv scope:SCOPE_SE
	v_cmp_lt_u32_e32 vcc_lo, 0x287, v0
	v_lshrrev_b32_e32 v45, 16, v13
	v_lshrrev_b32_e32 v46, 16, v14
	;; [unrolled: 1-line block ×6, first 2 shown]
	v_mul_f16_e32 v51, v45, v40
	v_mul_f16_e32 v45, v45, v23
	;; [unrolled: 1-line block ×12, first 2 shown]
	v_fma_f16 v23, v13, v23, -v51
	v_fmac_f16_e32 v45, v13, v40
	v_fma_f16 v13, v14, v26, -v52
	v_fmac_f16_e32 v46, v14, v41
	;; [unrolled: 2-line block ×6, first 2 shown]
	v_add_f16_e32 v21, v23, v13
	v_add_f16_e32 v25, v45, v46
	;; [unrolled: 1-line block ×4, first 2 shown]
	v_sub_f16_e32 v22, v45, v46
	v_add_f16_e32 v24, v37, v45
	v_sub_f16_e32 v40, v47, v48
	v_add_f16_e32 v41, v38, v47
	v_add_f16_e32 v44, v16, v17
	v_sub_f16_e32 v45, v49, v50
	v_add_f16_e32 v47, v36, v49
	v_add_f16_e32 v49, v49, v50
	;; [unrolled: 1-line block ×3, first 2 shown]
	v_sub_f16_e32 v23, v23, v13
	v_add_f16_e32 v43, v1, v16
	v_fmac_f16_e32 v34, -0.5, v21
	v_fmac_f16_e32 v37, -0.5, v25
	v_add_f16_e32 v26, v35, v14
	v_sub_f16_e32 v14, v14, v15
	v_fmac_f16_e32 v35, -0.5, v39
	v_fmac_f16_e32 v38, -0.5, v42
	v_sub_f16_e32 v16, v16, v17
	v_fmac_f16_e32 v1, -0.5, v44
	v_fmac_f16_e32 v36, -0.5, v49
	v_add_f16_e32 v13, v18, v13
	v_add_f16_e32 v18, v24, v46
	;; [unrolled: 1-line block ×4, first 2 shown]
	v_fmamk_f16 v25, v22, 0x3aee, v34
	v_fmac_f16_e32 v34, 0xbaee, v22
	v_fmamk_f16 v22, v23, 0xbaee, v37
	v_fmac_f16_e32 v37, 0x3aee, v23
	v_add_f16_e32 v15, v26, v15
	v_add_f16_e32 v21, v41, v48
	v_fmamk_f16 v23, v40, 0x3aee, v35
	v_fmamk_f16 v26, v14, 0xbaee, v38
	v_fmac_f16_e32 v35, 0xbaee, v40
	v_fmac_f16_e32 v38, 0x3aee, v14
	v_fmamk_f16 v14, v45, 0x3aee, v1
	v_fmamk_f16 v39, v16, 0xbaee, v36
	v_fmac_f16_e32 v1, 0xbaee, v45
	v_fmac_f16_e32 v36, 0x3aee, v16
	v_pack_b32_f16 v13, v13, v18
	v_pack_b32_f16 v16, v17, v24
	;; [unrolled: 1-line block ×9, first 2 shown]
	ds_store_2addr_b32 v30, v13, v17 offset1:216
	ds_store_b32 v30, v18 offset:1728
	ds_store_2addr_b32 v32, v15, v21 offset1:216
	ds_store_b32 v32, v22 offset:1728
	;; [unrolled: 2-line block ×3, first 2 shown]
	global_wb scope:SCOPE_SE
	s_wait_dscnt 0x0
	s_barrier_signal -1
	s_barrier_wait -1
	global_inv scope:SCOPE_SE
	s_clause 0x2
	global_load_b64 v[13:14], v[19:20], off offset:312
	global_load_b64 v[15:16], v[27:28], off offset:312
	global_load_b64 v[17:18], v33, s[4:5] offset:312
	s_wait_alu 0xfffd
	v_cndmask_b32_e64 v1, 0, 0xf3, vcc_lo
	v_mad_co_u64_u32 v[19:20], null, s0, v5, 0
	v_cmp_lt_u32_e32 vcc_lo, 0x1af, v0
	s_lshl_b64 s[4:5], s[20:21], 2
	s_delay_alu instid0(VALU_DEP_3)
	v_add_nc_u32_e32 v1, v31, v1
	ds_load_b32 v37, v3
	ds_load_b32 v12, v12
	ds_load_2addr_b32 v[31:32], v10 offset0:8 offset1:224
	ds_load_2addr_b32 v[33:34], v8 offset0:8 offset1:224
	;; [unrolled: 1-line block ×3, first 2 shown]
	ds_load_u16 v10, v11
	ds_load_u16 v11, v11 offset:2
	s_wait_alu 0xfffd
	v_cndmask_b32_e64 v7, 0, 0xa2, vcc_lo
	v_mov_b32_e32 v0, v20
	v_mul_lo_u32 v1, v1, s2
	s_delay_alu instid0(VALU_DEP_3) | instskip(NEXT) | instid1(VALU_DEP_2)
	v_add_nc_u32_e32 v20, v7, v6
	v_lshlrev_b64_e32 v[21:22], 2, v[1:2]
	s_wait_alu 0xfffe
	v_add_nc_u32_e32 v1, s11, v1
	s_delay_alu instid0(VALU_DEP_1)
	v_lshlrev_b64_e32 v[23:24], 2, v[1:2]
	v_add_nc_u32_e32 v1, s11, v1
	s_wait_dscnt 0x2
	v_lshrrev_b32_e32 v38, 16, v9
	v_lshrrev_b32_e32 v39, 16, v34
	;; [unrolled: 1-line block ×4, first 2 shown]
	v_mad_co_u64_u32 v[5:6], null, s1, v5, v[0:1]
	v_lshlrev_b64_e32 v[6:7], 2, v[1:2]
	v_mul_lo_u32 v1, v20, s2
	s_mul_u64 s[0:1], s[6:7], s[8:9]
	v_and_b32_e32 v0, 0xffff, v29
	s_wait_alu 0xfffe
	s_lshl_b64 s[0:1], s[0:1], 2
	s_delay_alu instid0(VALU_DEP_4)
	v_mov_b32_e32 v20, v5
	s_wait_alu 0xfffe
	s_add_nc_u64 s[0:1], s[14:15], s[0:1]
	v_mad_u32_u24 v0, 0xa2, v0, v4
	v_lshlrev_b64_e32 v[25:26], 2, v[1:2]
	v_add_nc_u32_e32 v1, s11, v1
	v_lshlrev_b64_e32 v[19:20], 2, v[19:20]
	s_wait_alu 0xfffe
	s_add_nc_u64 s[0:1], s[0:1], s[4:5]
	s_delay_alu instid0(VALU_DEP_2)
	v_lshlrev_b64_e32 v[4:5], 2, v[1:2]
	v_add_nc_u32_e32 v1, s11, v1
	s_wait_alu 0xfffe
	v_add_co_u32 v35, vcc_lo, s0, v19
	s_wait_alu 0xfffd
	v_add_co_ci_u32_e32 v36, vcc_lo, s1, v20, vcc_lo
	v_lshlrev_b64_e32 v[19:20], 2, v[1:2]
	v_mul_lo_u32 v1, v0, s2
	v_add_co_u32 v21, vcc_lo, v35, v21
	s_wait_alu 0xfffd
	v_add_co_ci_u32_e32 v22, vcc_lo, v36, v22, vcc_lo
	v_add_co_u32 v23, vcc_lo, v35, v23
	s_wait_alu 0xfffd
	v_add_co_ci_u32_e32 v24, vcc_lo, v36, v24, vcc_lo
	;; [unrolled: 3-line block ×3, first 2 shown]
	v_lshlrev_b64_e32 v[27:28], 2, v[1:2]
	v_add_nc_u32_e32 v1, s11, v1
	v_add_co_u32 v25, vcc_lo, v35, v25
	s_wait_alu 0xfffd
	v_add_co_ci_u32_e32 v26, vcc_lo, v36, v26, vcc_lo
	v_add_co_u32 v4, vcc_lo, v35, v4
	v_lshlrev_b64_e32 v[29:30], 2, v[1:2]
	v_add_nc_u32_e32 v1, s11, v1
	s_wait_alu 0xfffd
	v_add_co_ci_u32_e32 v5, vcc_lo, v36, v5, vcc_lo
	v_add_co_u32 v19, vcc_lo, v35, v19
	s_wait_alu 0xfffd
	v_add_co_ci_u32_e32 v20, vcc_lo, v36, v20, vcc_lo
	v_add_co_u32 v27, vcc_lo, v35, v27
	v_lshlrev_b64_e32 v[0:1], 2, v[1:2]
	s_wait_alu 0xfffd
	v_add_co_ci_u32_e32 v28, vcc_lo, v36, v28, vcc_lo
	v_add_co_u32 v2, vcc_lo, v35, v29
	s_wait_alu 0xfffd
	v_add_co_ci_u32_e32 v3, vcc_lo, v36, v30, vcc_lo
	v_add_co_u32 v0, vcc_lo, v35, v0
	s_wait_alu 0xfffd
	v_add_co_ci_u32_e32 v1, vcc_lo, v36, v1, vcc_lo
	v_lshrrev_b32_e32 v36, 16, v33
	v_lshrrev_b32_e32 v35, 16, v32
	;; [unrolled: 1-line block ×4, first 2 shown]
	s_wait_loadcnt 0x2
	v_lshrrev_b32_e32 v42, 16, v13
	v_lshrrev_b32_e32 v43, 16, v14
	s_wait_loadcnt 0x1
	v_lshrrev_b32_e32 v44, 16, v15
	v_lshrrev_b32_e32 v45, 16, v16
	;; [unrolled: 3-line block ×3, first 2 shown]
	v_mul_f16_e32 v48, v42, v36
	v_mul_f16_e32 v42, v42, v33
	;; [unrolled: 1-line block ×12, first 2 shown]
	v_fma_f16 v33, v13, v33, -v48
	v_fmac_f16_e32 v42, v13, v36
	v_fma_f16 v9, v14, v9, -v49
	v_fmac_f16_e32 v43, v14, v38
	;; [unrolled: 2-line block ×6, first 2 shown]
	v_add_f16_e32 v16, v37, v33
	v_add_f16_e32 v17, v33, v9
	v_add_f16_e32 v31, v29, v42
	v_add_f16_e32 v32, v42, v43
	v_add_f16_e32 v35, v13, v14
	v_add_f16_e32 v39, v44, v45
	v_sub_f16_e32 v18, v42, v43
	v_sub_f16_e32 v33, v33, v9
	v_sub_f16_e32 v36, v44, v45
	v_add_f16_e32 v38, v30, v44
	v_add_f16_e32 v41, v8, v15
	v_sub_f16_e32 v42, v46, v47
	s_wait_dscnt 0x0
	v_add_f16_e32 v44, v11, v46
	v_add_f16_e32 v46, v46, v47
	;; [unrolled: 1-line block ×3, first 2 shown]
	v_fmac_f16_e32 v37, -0.5, v17
	v_add_f16_e32 v16, v31, v43
	v_fmac_f16_e32 v29, -0.5, v32
	v_add_f16_e32 v34, v12, v13
	v_add_f16_e32 v40, v10, v8
	v_sub_f16_e32 v13, v13, v14
	v_fmac_f16_e32 v12, -0.5, v35
	v_fmac_f16_e32 v30, -0.5, v39
	v_sub_f16_e32 v8, v8, v15
	v_fmac_f16_e32 v10, -0.5, v41
	v_fmac_f16_e32 v11, -0.5, v46
	v_fmamk_f16 v32, v18, 0x3aee, v37
	v_fmac_f16_e32 v37, 0xbaee, v18
	v_fmamk_f16 v18, v33, 0xbaee, v29
	v_pack_b32_f16 v9, v9, v16
	v_add_f16_e32 v14, v34, v14
	v_add_f16_e32 v17, v38, v45
	;; [unrolled: 1-line block ×4, first 2 shown]
	v_fmac_f16_e32 v29, 0x3aee, v33
	v_fmamk_f16 v33, v36, 0x3aee, v12
	v_fmamk_f16 v34, v13, 0xbaee, v30
	v_fmac_f16_e32 v12, 0xbaee, v36
	v_fmac_f16_e32 v30, 0x3aee, v13
	v_fmamk_f16 v13, v42, 0x3aee, v10
	v_fmac_f16_e32 v10, 0xbaee, v42
	v_fmamk_f16 v16, v8, 0xbaee, v11
	v_fmac_f16_e32 v11, 0x3aee, v8
	global_store_b32 v[21:22], v9, off
	v_pack_b32_f16 v9, v32, v18
	v_pack_b32_f16 v8, v14, v17
	;; [unrolled: 1-line block ×8, first 2 shown]
	s_clause 0x7
	global_store_b32 v[23:24], v9, off
	global_store_b32 v[6:7], v15, off
	;; [unrolled: 1-line block ×8, first 2 shown]
	s_nop 0
	s_sendmsg sendmsg(MSG_DEALLOC_VGPRS)
	s_endpgm
	.section	.rodata,"a",@progbits
	.p2align	6, 0x0
	.amdhsa_kernel fft_rtc_fwd_len243_factors_3_3_3_3_3_wgs_216_tpt_27_half_op_CI_CI_sbrc_xy_z_diag_dirReg
		.amdhsa_group_segment_fixed_size 0
		.amdhsa_private_segment_fixed_size 0
		.amdhsa_kernarg_size 104
		.amdhsa_user_sgpr_count 2
		.amdhsa_user_sgpr_dispatch_ptr 0
		.amdhsa_user_sgpr_queue_ptr 0
		.amdhsa_user_sgpr_kernarg_segment_ptr 1
		.amdhsa_user_sgpr_dispatch_id 0
		.amdhsa_user_sgpr_private_segment_size 0
		.amdhsa_wavefront_size32 1
		.amdhsa_uses_dynamic_stack 0
		.amdhsa_enable_private_segment 0
		.amdhsa_system_sgpr_workgroup_id_x 1
		.amdhsa_system_sgpr_workgroup_id_y 0
		.amdhsa_system_sgpr_workgroup_id_z 0
		.amdhsa_system_sgpr_workgroup_info 0
		.amdhsa_system_vgpr_workitem_id 0
		.amdhsa_next_free_vgpr 61
		.amdhsa_next_free_sgpr 24
		.amdhsa_reserve_vcc 1
		.amdhsa_float_round_mode_32 0
		.amdhsa_float_round_mode_16_64 0
		.amdhsa_float_denorm_mode_32 3
		.amdhsa_float_denorm_mode_16_64 3
		.amdhsa_fp16_overflow 0
		.amdhsa_workgroup_processor_mode 1
		.amdhsa_memory_ordered 1
		.amdhsa_forward_progress 0
		.amdhsa_round_robin_scheduling 0
		.amdhsa_exception_fp_ieee_invalid_op 0
		.amdhsa_exception_fp_denorm_src 0
		.amdhsa_exception_fp_ieee_div_zero 0
		.amdhsa_exception_fp_ieee_overflow 0
		.amdhsa_exception_fp_ieee_underflow 0
		.amdhsa_exception_fp_ieee_inexact 0
		.amdhsa_exception_int_div_zero 0
	.end_amdhsa_kernel
	.text
.Lfunc_end0:
	.size	fft_rtc_fwd_len243_factors_3_3_3_3_3_wgs_216_tpt_27_half_op_CI_CI_sbrc_xy_z_diag_dirReg, .Lfunc_end0-fft_rtc_fwd_len243_factors_3_3_3_3_3_wgs_216_tpt_27_half_op_CI_CI_sbrc_xy_z_diag_dirReg
                                        ; -- End function
	.section	.AMDGPU.csdata,"",@progbits
; Kernel info:
; codeLenInByte = 6700
; NumSgprs: 26
; NumVgprs: 61
; ScratchSize: 0
; MemoryBound: 0
; FloatMode: 240
; IeeeMode: 1
; LDSByteSize: 0 bytes/workgroup (compile time only)
; SGPRBlocks: 3
; VGPRBlocks: 7
; NumSGPRsForWavesPerEU: 26
; NumVGPRsForWavesPerEU: 61
; Occupancy: 16
; WaveLimiterHint : 1
; COMPUTE_PGM_RSRC2:SCRATCH_EN: 0
; COMPUTE_PGM_RSRC2:USER_SGPR: 2
; COMPUTE_PGM_RSRC2:TRAP_HANDLER: 0
; COMPUTE_PGM_RSRC2:TGID_X_EN: 1
; COMPUTE_PGM_RSRC2:TGID_Y_EN: 0
; COMPUTE_PGM_RSRC2:TGID_Z_EN: 0
; COMPUTE_PGM_RSRC2:TIDIG_COMP_CNT: 0
	.text
	.p2alignl 7, 3214868480
	.fill 96, 4, 3214868480
	.type	__hip_cuid_7e436dea4eafc25,@object ; @__hip_cuid_7e436dea4eafc25
	.section	.bss,"aw",@nobits
	.globl	__hip_cuid_7e436dea4eafc25
__hip_cuid_7e436dea4eafc25:
	.byte	0                               ; 0x0
	.size	__hip_cuid_7e436dea4eafc25, 1

	.ident	"AMD clang version 19.0.0git (https://github.com/RadeonOpenCompute/llvm-project roc-6.4.0 25133 c7fe45cf4b819c5991fe208aaa96edf142730f1d)"
	.section	".note.GNU-stack","",@progbits
	.addrsig
	.addrsig_sym __hip_cuid_7e436dea4eafc25
	.amdgpu_metadata
---
amdhsa.kernels:
  - .args:
      - .actual_access:  read_only
        .address_space:  global
        .offset:         0
        .size:           8
        .value_kind:     global_buffer
      - .offset:         8
        .size:           8
        .value_kind:     by_value
      - .actual_access:  read_only
        .address_space:  global
        .offset:         16
        .size:           8
        .value_kind:     global_buffer
      - .actual_access:  read_only
        .address_space:  global
        .offset:         24
        .size:           8
        .value_kind:     global_buffer
      - .actual_access:  read_only
        .address_space:  global
        .offset:         32
        .size:           8
        .value_kind:     global_buffer
      - .offset:         40
        .size:           8
        .value_kind:     by_value
      - .actual_access:  read_only
        .address_space:  global
        .offset:         48
        .size:           8
        .value_kind:     global_buffer
      - .actual_access:  read_only
        .address_space:  global
        .offset:         56
        .size:           8
        .value_kind:     global_buffer
      - .offset:         64
        .size:           4
        .value_kind:     by_value
      - .actual_access:  read_only
        .address_space:  global
        .offset:         72
        .size:           8
        .value_kind:     global_buffer
      - .actual_access:  read_only
        .address_space:  global
        .offset:         80
        .size:           8
        .value_kind:     global_buffer
      - .actual_access:  read_only
        .address_space:  global
        .offset:         88
        .size:           8
        .value_kind:     global_buffer
      - .actual_access:  write_only
        .address_space:  global
        .offset:         96
        .size:           8
        .value_kind:     global_buffer
    .group_segment_fixed_size: 0
    .kernarg_segment_align: 8
    .kernarg_segment_size: 104
    .language:       OpenCL C
    .language_version:
      - 2
      - 0
    .max_flat_workgroup_size: 216
    .name:           fft_rtc_fwd_len243_factors_3_3_3_3_3_wgs_216_tpt_27_half_op_CI_CI_sbrc_xy_z_diag_dirReg
    .private_segment_fixed_size: 0
    .sgpr_count:     26
    .sgpr_spill_count: 0
    .symbol:         fft_rtc_fwd_len243_factors_3_3_3_3_3_wgs_216_tpt_27_half_op_CI_CI_sbrc_xy_z_diag_dirReg.kd
    .uniform_work_group_size: 1
    .uses_dynamic_stack: false
    .vgpr_count:     61
    .vgpr_spill_count: 0
    .wavefront_size: 32
    .workgroup_processor_mode: 1
amdhsa.target:   amdgcn-amd-amdhsa--gfx1201
amdhsa.version:
  - 1
  - 2
...

	.end_amdgpu_metadata
